;; amdgpu-corpus repo=ROCm/rocFFT kind=compiled arch=gfx906 opt=O3
	.text
	.amdgcn_target "amdgcn-amd-amdhsa--gfx906"
	.amdhsa_code_object_version 6
	.protected	bluestein_single_fwd_len300_dim1_dp_op_CI_CI ; -- Begin function bluestein_single_fwd_len300_dim1_dp_op_CI_CI
	.globl	bluestein_single_fwd_len300_dim1_dp_op_CI_CI
	.p2align	8
	.type	bluestein_single_fwd_len300_dim1_dp_op_CI_CI,@function
bluestein_single_fwd_len300_dim1_dp_op_CI_CI: ; @bluestein_single_fwd_len300_dim1_dp_op_CI_CI
; %bb.0:
	s_load_dwordx4 s[16:19], s[4:5], 0x28
	v_mul_u32_u24_e32 v1, 0x889, v0
	v_lshrrev_b32_e32 v40, 16, v1
	v_lshl_add_u32 v156, s6, 1, v40
	v_mov_b32_e32 v157, 0
	s_waitcnt lgkmcnt(0)
	v_cmp_gt_u64_e32 vcc, s[16:17], v[156:157]
	s_and_saveexec_b64 s[0:1], vcc
	s_cbranch_execz .LBB0_10
; %bb.1:
	s_load_dwordx4 s[8:11], s[4:5], 0x18
	s_load_dwordx4 s[12:15], s[4:5], 0x0
	v_mul_lo_u16_e32 v1, 30, v40
	v_sub_u16_e32 v157, v0, v1
	v_lshlrev_b32_e32 v89, 4, v157
	s_waitcnt lgkmcnt(0)
	s_load_dwordx4 s[0:3], s[8:9], 0x0
	v_and_b32_e32 v40, 1, v40
	s_mov_b32 s21, 0xbfe2cf23
	s_mov_b32 s16, 0x372fe950
	s_mov_b32 s17, 0x3fd3c6ef
	s_waitcnt lgkmcnt(0)
	v_mad_u64_u32 v[0:1], s[6:7], s2, v156, 0
	v_mad_u64_u32 v[2:3], s[6:7], s0, v157, 0
	s_mul_hi_u32 s6, s0, 0x1e0
	s_mulk_i32 s0, 0x1e0
	v_mad_u64_u32 v[4:5], s[2:3], s3, v156, v[1:2]
	s_mov_b32 s22, 0x9b97f4a8
	s_mov_b32 s23, 0x3fe9e377
	v_mad_u64_u32 v[5:6], s[2:3], s1, v157, v[3:4]
	v_mov_b32_e32 v1, v4
	v_lshlrev_b64 v[0:1], 4, v[0:1]
	v_mov_b32_e32 v3, v5
	v_mov_b32_e32 v6, s19
	v_lshlrev_b64 v[2:3], 4, v[2:3]
	v_add_co_u32_e32 v0, vcc, s18, v0
	v_addc_co_u32_e32 v1, vcc, v6, v1, vcc
	v_add_co_u32_e32 v0, vcc, v0, v2
	v_mov_b32_e32 v2, s13
	v_add_co_u32_e64 v159, s[2:3], s12, v89
	s_mulk_i32 s1, 0x1e0
	v_addc_co_u32_e32 v1, vcc, v1, v3, vcc
	v_addc_co_u32_e64 v18, vcc, 0, v2, s[2:3]
	s_add_i32 s1, s6, s1
	v_mov_b32_e32 v3, s1
	v_add_co_u32_e32 v2, vcc, s0, v0
	v_addc_co_u32_e32 v3, vcc, v1, v3, vcc
	global_load_dwordx4 v[41:44], v[0:1], off
	global_load_dwordx4 v[45:48], v[2:3], off
	global_load_dwordx4 v[36:39], v89, s[12:13]
	global_load_dwordx4 v[20:23], v89, s[12:13] offset:480
	v_mov_b32_e32 v1, s1
	v_add_co_u32_e32 v0, vcc, s0, v2
	v_addc_co_u32_e32 v1, vcc, v3, v1, vcc
	v_mov_b32_e32 v3, s1
	v_add_co_u32_e32 v2, vcc, s0, v0
	v_addc_co_u32_e32 v3, vcc, v1, v3, vcc
	global_load_dwordx4 v[49:52], v[0:1], off
	global_load_dwordx4 v[53:56], v[2:3], off
	global_load_dwordx4 v[32:35], v89, s[12:13] offset:960
	global_load_dwordx4 v[8:11], v89, s[12:13] offset:1440
	v_mov_b32_e32 v1, s1
	v_add_co_u32_e32 v0, vcc, s0, v2
	v_addc_co_u32_e32 v1, vcc, v3, v1, vcc
	global_load_dwordx4 v[57:60], v[0:1], off
	v_mov_b32_e32 v2, s1
	v_add_co_u32_e32 v0, vcc, s0, v0
	v_addc_co_u32_e32 v1, vcc, v1, v2, vcc
	global_load_dwordx4 v[61:64], v[0:1], off
	global_load_dwordx4 v[28:31], v89, s[12:13] offset:1920
	global_load_dwordx4 v[4:7], v89, s[12:13] offset:2400
	v_add_co_u32_e32 v0, vcc, s0, v0
	v_addc_co_u32_e32 v1, vcc, v1, v2, vcc
	global_load_dwordx4 v[65:68], v[0:1], off
	v_add_co_u32_e32 v0, vcc, s0, v0
	v_addc_co_u32_e32 v1, vcc, v1, v2, vcc
	v_add_co_u32_e32 v16, vcc, s0, v0
	v_addc_co_u32_e32 v17, vcc, v1, v2, vcc
	global_load_dwordx4 v[69:72], v[0:1], off
	global_load_dwordx4 v[24:27], v89, s[12:13] offset:2880
	global_load_dwordx4 v[12:15], v89, s[12:13] offset:3360
	global_load_dwordx4 v[73:76], v[16:17], off
	s_nop 0
	global_load_dwordx4 v[0:3], v89, s[12:13] offset:3840
	v_mov_b32_e32 v19, s1
	v_add_co_u32_e32 v16, vcc, s0, v16
	v_addc_co_u32_e32 v17, vcc, v17, v19, vcc
	s_movk_i32 s0, 0x1000
	global_load_dwordx4 v[77:80], v[16:17], off
	v_add_co_u32_e32 v16, vcc, s0, v159
	v_addc_co_u32_e32 v17, vcc, 0, v18, vcc
	global_load_dwordx4 v[16:19], v[16:17], off offset:224
	v_cmp_eq_u32_e32 vcc, 1, v40
	s_load_dwordx4 s[8:11], s[10:11], 0x0
	s_mov_b32 s0, 0x134454ff
	s_mov_b32 s1, 0x3fee6f0e
	;; [unrolled: 1-line block ×7, first 2 shown]
	s_movk_i32 s12, 0xcd
	s_load_dwordx2 s[4:5], s[4:5], 0x38
	s_waitcnt vmcnt(17)
	v_mul_f64 v[81:82], v[43:44], v[38:39]
	v_mul_f64 v[83:84], v[41:42], v[38:39]
	s_waitcnt vmcnt(16)
	v_mul_f64 v[85:86], v[47:48], v[22:23]
	v_mul_f64 v[87:88], v[45:46], v[22:23]
	v_fma_f64 v[41:42], v[41:42], v[36:37], v[81:82]
	v_fma_f64 v[43:44], v[43:44], v[36:37], -v[83:84]
	v_fma_f64 v[45:46], v[45:46], v[20:21], v[85:86]
	v_fma_f64 v[47:48], v[47:48], v[20:21], -v[87:88]
	v_mov_b32_e32 v81, 0x12c
	v_cndmask_b32_e32 v40, 0, v81, vcc
	v_lshlrev_b32_e32 v162, 4, v40
	v_add_u32_e32 v158, v162, v89
	ds_write_b128 v158, v[41:44]
	ds_write_b128 v158, v[45:48] offset:480
	s_waitcnt vmcnt(13)
	v_mul_f64 v[40:41], v[51:52], v[34:35]
	v_mul_f64 v[42:43], v[49:50], v[34:35]
	s_waitcnt vmcnt(12)
	v_mul_f64 v[46:47], v[53:54], v[10:11]
	v_mul_f64 v[44:45], v[55:56], v[10:11]
	;; [unrolled: 3-line block ×4, first 2 shown]
	v_fma_f64 v[40:41], v[49:50], v[32:33], v[40:41]
	v_fma_f64 v[42:43], v[51:52], v[32:33], -v[42:43]
	v_fma_f64 v[46:47], v[55:56], v[8:9], -v[46:47]
	v_fma_f64 v[44:45], v[53:54], v[8:9], v[44:45]
	v_fma_f64 v[48:49], v[57:58], v[28:29], v[81:82]
	v_fma_f64 v[50:51], v[59:60], v[28:29], -v[83:84]
	v_fma_f64 v[52:53], v[61:62], v[4:5], v[85:86]
	v_fma_f64 v[54:55], v[63:64], v[4:5], -v[87:88]
	s_waitcnt vmcnt(5)
	v_mul_f64 v[56:57], v[67:68], v[26:27]
	v_mul_f64 v[58:59], v[65:66], v[26:27]
	s_waitcnt vmcnt(4)
	v_mul_f64 v[60:61], v[71:72], v[14:15]
	v_mul_f64 v[62:63], v[69:70], v[14:15]
	;; [unrolled: 3-line block ×3, first 2 shown]
	v_fma_f64 v[56:57], v[65:66], v[24:25], v[56:57]
	v_fma_f64 v[58:59], v[67:68], v[24:25], -v[58:59]
	v_fma_f64 v[60:61], v[69:70], v[12:13], v[60:61]
	v_fma_f64 v[62:63], v[71:72], v[12:13], -v[62:63]
	;; [unrolled: 2-line block ×3, first 2 shown]
	s_waitcnt vmcnt(0)
	v_mul_f64 v[85:86], v[79:80], v[18:19]
	v_mul_f64 v[87:88], v[77:78], v[18:19]
	v_fma_f64 v[68:69], v[77:78], v[16:17], v[85:86]
	v_fma_f64 v[70:71], v[79:80], v[16:17], -v[87:88]
	ds_write_b128 v158, v[40:43] offset:960
	ds_write_b128 v158, v[44:47] offset:1440
	;; [unrolled: 1-line block ×8, first 2 shown]
	s_waitcnt lgkmcnt(0)
	; wave barrier
	s_waitcnt lgkmcnt(0)
	ds_read_b128 v[40:43], v158 offset:960
	ds_read_b128 v[44:47], v158
	ds_read_b128 v[48:51], v158 offset:1920
	ds_read_b128 v[52:55], v158 offset:2880
	;; [unrolled: 1-line block ×4, first 2 shown]
	s_waitcnt lgkmcnt(4)
	v_add_f64 v[76:77], v[44:45], v[40:41]
	ds_read_b128 v[64:67], v158 offset:2400
	ds_read_b128 v[68:71], v158 offset:3360
	s_waitcnt lgkmcnt(4)
	v_add_f64 v[78:79], v[48:49], v[52:53]
	ds_read_b128 v[72:75], v158 offset:3840
	v_add_f64 v[88:89], v[50:51], -v[54:55]
	v_add_f64 v[90:91], v[40:41], -v[48:49]
	v_add_f64 v[96:97], v[46:47], v[42:43]
	s_waitcnt lgkmcnt(2)
	v_add_f64 v[100:101], v[60:61], -v[64:65]
	v_add_f64 v[80:81], v[76:77], v[48:49]
	v_fma_f64 v[82:83], v[78:79], -0.5, v[44:45]
	ds_read_b128 v[76:79], v158 offset:4320
	s_waitcnt lgkmcnt(1)
	v_add_f64 v[94:95], v[40:41], v[72:73]
	v_add_f64 v[84:85], v[42:43], -v[74:75]
	v_add_f64 v[92:93], v[72:73], -v[52:53]
	;; [unrolled: 1-line block ×3, first 2 shown]
	v_add_f64 v[80:81], v[80:81], v[52:53]
	v_add_f64 v[40:41], v[48:49], -v[40:41]
	v_add_f64 v[48:49], v[48:49], -v[52:53]
	s_waitcnt lgkmcnt(0)
	v_add_f64 v[102:103], v[76:77], -v[68:69]
	v_fma_f64 v[44:45], v[94:95], -0.5, v[44:45]
	v_fma_f64 v[86:87], v[84:85], s[0:1], v[82:83]
	v_add_f64 v[90:91], v[90:91], v[92:93]
	v_add_f64 v[92:93], v[50:51], v[54:55]
	;; [unrolled: 1-line block ×3, first 2 shown]
	v_fma_f64 v[82:83], v[84:85], s[18:19], v[82:83]
	v_add_f64 v[72:73], v[52:53], -v[72:73]
	v_add_f64 v[52:53], v[42:43], -v[50:51]
	v_fma_f64 v[94:95], v[88:89], s[18:19], v[44:45]
	v_fma_f64 v[44:45], v[88:89], s[0:1], v[44:45]
	;; [unrolled: 1-line block ×3, first 2 shown]
	v_fma_f64 v[92:93], v[92:93], -0.5, v[46:47]
	v_fma_f64 v[82:83], v[88:89], s[20:21], v[82:83]
	v_add_f64 v[40:41], v[40:41], v[72:73]
	v_add_f64 v[72:73], v[74:75], -v[54:55]
	v_fma_f64 v[88:89], v[84:85], s[6:7], v[94:95]
	v_fma_f64 v[44:45], v[84:85], s[20:21], v[44:45]
	v_add_f64 v[84:85], v[42:43], v[74:75]
	v_add_f64 v[94:95], v[96:97], v[50:51]
	v_fma_f64 v[96:97], v[98:99], s[18:19], v[92:93]
	v_fma_f64 v[86:87], v[90:91], s[16:17], v[86:87]
	;; [unrolled: 1-line block ×3, first 2 shown]
	v_add_f64 v[90:91], v[64:65], v[68:69]
	v_add_f64 v[52:53], v[52:53], v[72:73]
	v_fma_f64 v[72:73], v[40:41], s[16:17], v[88:89]
	v_fma_f64 v[46:47], v[84:85], -0.5, v[46:47]
	v_fma_f64 v[84:85], v[40:41], s[16:17], v[44:45]
	v_add_f64 v[40:41], v[56:57], v[60:61]
	v_add_f64 v[94:95], v[94:95], v[54:55]
	v_fma_f64 v[96:97], v[48:49], s[20:21], v[96:97]
	v_fma_f64 v[44:45], v[90:91], -0.5, v[56:57]
	v_add_f64 v[90:91], v[62:63], -v[78:79]
	v_fma_f64 v[92:93], v[98:99], s[0:1], v[92:93]
	v_add_f64 v[42:43], v[50:51], -v[42:43]
	v_add_f64 v[50:51], v[54:55], -v[74:75]
	v_add_f64 v[40:41], v[40:41], v[64:65]
	v_add_f64 v[88:89], v[94:95], v[74:75]
	v_fma_f64 v[94:95], v[52:53], s[16:17], v[96:97]
	v_fma_f64 v[96:97], v[48:49], s[0:1], v[46:47]
	;; [unrolled: 1-line block ×4, first 2 shown]
	v_add_f64 v[74:75], v[66:67], -v[70:71]
	v_fma_f64 v[48:49], v[48:49], s[6:7], v[92:93]
	v_add_f64 v[40:41], v[40:41], v[68:69]
	v_add_f64 v[92:93], v[60:61], v[76:77]
	;; [unrolled: 1-line block ×3, first 2 shown]
	v_fma_f64 v[96:97], v[98:99], s[20:21], v[96:97]
	v_fma_f64 v[46:47], v[98:99], s[6:7], v[46:47]
	v_fma_f64 v[44:45], v[90:91], s[18:19], v[44:45]
	v_fma_f64 v[50:51], v[74:75], s[6:7], v[54:55]
	v_add_f64 v[54:55], v[100:101], v[102:103]
	v_fma_f64 v[98:99], v[52:53], s[16:17], v[48:49]
	v_add_f64 v[52:53], v[66:67], v[70:71]
	v_add_f64 v[100:101], v[40:41], v[76:77]
	;; [unrolled: 1-line block ×3, first 2 shown]
	v_fma_f64 v[48:49], v[92:93], -0.5, v[56:57]
	v_fma_f64 v[92:93], v[42:43], s[16:17], v[96:97]
	v_fma_f64 v[96:97], v[42:43], s[16:17], v[46:47]
	;; [unrolled: 1-line block ×3, first 2 shown]
	v_add_f64 v[56:57], v[64:65], -v[60:61]
	v_fma_f64 v[50:51], v[52:53], -0.5, v[58:59]
	v_add_f64 v[52:53], v[60:61], -v[76:77]
	v_add_f64 v[60:61], v[68:69], -v[76:77]
	;; [unrolled: 1-line block ×3, first 2 shown]
	v_fma_f64 v[40:41], v[40:41], -0.5, v[58:59]
	v_fma_f64 v[46:47], v[74:75], s[18:19], v[48:49]
	v_fma_f64 v[48:49], v[74:75], s[0:1], v[48:49]
	v_add_f64 v[58:59], v[58:59], v[62:63]
	v_fma_f64 v[44:45], v[74:75], s[20:21], v[44:45]
	v_fma_f64 v[68:69], v[52:53], s[18:19], v[50:51]
	v_add_f64 v[74:75], v[62:63], -v[66:67]
	v_add_f64 v[76:77], v[78:79], -v[70:71]
	v_add_f64 v[56:57], v[56:57], v[60:61]
	v_fma_f64 v[60:61], v[64:65], s[0:1], v[40:41]
	v_add_f64 v[62:63], v[66:67], -v[62:63]
	v_add_f64 v[102:103], v[70:71], -v[78:79]
	v_fma_f64 v[46:47], v[90:91], s[6:7], v[46:47]
	v_fma_f64 v[48:49], v[90:91], s[20:21], v[48:49]
	v_add_f64 v[58:59], v[58:59], v[66:67]
	v_fma_f64 v[50:51], v[52:53], s[0:1], v[50:51]
	v_fma_f64 v[40:41], v[64:65], s[18:19], v[40:41]
	v_fma_f64 v[66:67], v[64:65], s[20:21], v[68:69]
	v_add_f64 v[68:69], v[74:75], v[76:77]
	v_fma_f64 v[60:61], v[52:53], s[20:21], v[60:61]
	v_add_f64 v[62:63], v[62:63], v[102:103]
	v_fma_f64 v[54:55], v[54:55], s[16:17], v[44:45]
	v_fma_f64 v[44:45], v[56:57], s[16:17], v[46:47]
	;; [unrolled: 1-line block ×3, first 2 shown]
	v_add_f64 v[48:49], v[58:59], v[70:71]
	v_fma_f64 v[50:51], v[64:65], s[6:7], v[50:51]
	v_fma_f64 v[40:41], v[52:53], s[6:7], v[40:41]
	;; [unrolled: 1-line block ×4, first 2 shown]
	v_mul_f64 v[58:59], v[42:43], s[22:23]
	v_mul_f64 v[42:43], v[42:43], s[20:21]
	;; [unrolled: 1-line block ×3, first 2 shown]
	v_add_f64 v[66:67], v[48:49], v[78:79]
	v_fma_f64 v[48:49], v[68:69], s[16:17], v[50:51]
	v_fma_f64 v[50:51], v[62:63], s[16:17], v[40:41]
	v_mul_f64 v[62:63], v[46:47], s[16:17]
	v_mul_f64 v[60:61], v[56:57], s[0:1]
	v_fma_f64 v[68:69], v[52:53], s[6:7], v[58:59]
	v_mul_f64 v[58:59], v[44:45], s[18:19]
	v_fma_f64 v[90:91], v[52:53], s[22:23], v[42:43]
	v_add_f64 v[40:41], v[80:81], v[100:101]
	v_mul_f64 v[74:75], v[48:49], s[22:23]
	v_mul_f64 v[70:71], v[50:51], s[16:17]
	v_fma_f64 v[62:63], v[50:51], s[0:1], -v[62:63]
	v_fma_f64 v[76:77], v[44:45], s[16:17], v[60:61]
	v_fma_f64 v[78:79], v[48:49], s[6:7], -v[64:65]
	v_fma_f64 v[102:103], v[56:57], s[16:17], v[58:59]
	v_add_f64 v[42:43], v[88:89], v[66:67]
	v_add_f64 v[44:45], v[86:87], v[68:69]
	v_fma_f64 v[106:107], v[54:55], s[20:21], -v[74:75]
	v_fma_f64 v[104:105], v[46:47], s[18:19], -v[70:71]
	v_add_f64 v[46:47], v[94:95], v[90:91]
	v_add_f64 v[48:49], v[72:73], v[76:77]
	;; [unrolled: 1-line block ×5, first 2 shown]
	v_add_f64 v[60:61], v[80:81], -v[100:101]
	v_add_f64 v[58:59], v[98:99], v[106:107]
	v_add_f64 v[54:55], v[96:97], v[104:105]
	v_add_f64 v[64:65], v[86:87], -v[68:69]
	v_add_f64 v[68:69], v[72:73], -v[76:77]
	;; [unrolled: 1-line block ×5, first 2 shown]
	v_mul_lo_u16_e32 v76, 10, v157
	v_add_f64 v[70:71], v[92:93], -v[102:103]
	v_lshl_add_u32 v160, v76, 4, v162
	v_add_f64 v[74:75], v[96:97], -v[104:105]
	; wave barrier
	ds_write_b128 v160, v[40:43]
	ds_write_b128 v160, v[44:47] offset:16
	ds_write_b128 v160, v[48:51] offset:32
	;; [unrolled: 1-line block ×8, first 2 shown]
	v_mul_lo_u16_sdwa v40, v157, s12 dst_sel:DWORD dst_unused:UNUSED_PAD src0_sel:BYTE_0 src1_sel:DWORD
	v_lshrrev_b16_e32 v76, 11, v40
	v_add_f64 v[78:79], v[82:83], -v[78:79]
	v_add_f64 v[80:81], v[98:99], -v[106:107]
	v_mul_lo_u16_e32 v40, 10, v76
	v_sub_u16_e32 v40, v157, v40
	v_and_b32_e32 v77, 0xff, v40
	v_mov_b32_e32 v41, s15
	s_movk_i32 s12, 0x90
	v_mov_b32_e32 v40, s14
	v_mad_u64_u32 v[82:83], s[24:25], v77, s12, v[40:41]
	ds_write_b128 v160, v[78:81] offset:144
	s_waitcnt lgkmcnt(0)
	; wave barrier
	s_waitcnt lgkmcnt(0)
	global_load_dwordx4 v[52:55], v[82:83], off
	global_load_dwordx4 v[48:51], v[82:83], off offset:16
	global_load_dwordx4 v[44:47], v[82:83], off offset:32
	global_load_dwordx4 v[40:43], v[82:83], off offset:48
	global_load_dwordx4 v[64:67], v[82:83], off offset:64
	global_load_dwordx4 v[56:59], v[82:83], off offset:80
	global_load_dwordx4 v[68:71], v[82:83], off offset:112
	global_load_dwordx4 v[60:63], v[82:83], off offset:96
	global_load_dwordx4 v[72:75], v[82:83], off offset:128
	ds_read_b128 v[78:81], v158 offset:480
	ds_read_b128 v[82:85], v158 offset:960
	;; [unrolled: 1-line block ×3, first 2 shown]
	ds_read_b128 v[90:93], v158
	ds_read_b128 v[94:97], v158 offset:1920
	ds_read_b128 v[98:101], v158 offset:2400
	v_mul_u32_u24_e32 v76, 0x64, v76
	v_add_u32_e32 v76, v76, v77
	v_lshl_add_u32 v161, v76, 4, v162
	s_waitcnt vmcnt(8) lgkmcnt(5)
	v_mul_f64 v[102:103], v[80:81], v[54:55]
	v_mul_f64 v[104:105], v[78:79], v[54:55]
	s_waitcnt vmcnt(7) lgkmcnt(4)
	v_mul_f64 v[106:107], v[84:85], v[50:51]
	v_mul_f64 v[108:109], v[82:83], v[50:51]
	;; [unrolled: 3-line block ×4, first 2 shown]
	v_fma_f64 v[102:103], v[78:79], v[52:53], -v[102:103]
	v_fma_f64 v[104:105], v[80:81], v[52:53], v[104:105]
	ds_read_b128 v[78:81], v158 offset:2880
	v_fma_f64 v[106:107], v[82:83], v[48:49], -v[106:107]
	v_fma_f64 v[108:109], v[84:85], v[48:49], v[108:109]
	ds_read_b128 v[82:85], v158 offset:3360
	s_waitcnt vmcnt(4) lgkmcnt(2)
	v_mul_f64 v[118:119], v[100:101], v[66:67]
	s_waitcnt vmcnt(3) lgkmcnt(1)
	v_mul_f64 v[122:123], v[80:81], v[58:59]
	v_fma_f64 v[110:111], v[86:87], v[44:45], -v[110:111]
	v_fma_f64 v[112:113], v[88:89], v[44:45], v[112:113]
	ds_read_b128 v[86:89], v158 offset:3840
	v_mul_f64 v[120:121], v[98:99], v[66:67]
	v_fma_f64 v[114:115], v[94:95], v[40:41], -v[114:115]
	v_fma_f64 v[116:117], v[96:97], v[40:41], v[116:117]
	ds_read_b128 v[94:97], v158 offset:4320
	v_mul_f64 v[124:125], v[78:79], v[58:59]
	s_waitcnt vmcnt(2) lgkmcnt(1)
	v_mul_f64 v[126:127], v[88:89], v[70:71]
	s_waitcnt vmcnt(1)
	v_mul_f64 v[128:129], v[84:85], v[62:63]
	v_mul_f64 v[130:131], v[82:83], v[62:63]
	;; [unrolled: 1-line block ×3, first 2 shown]
	v_fma_f64 v[98:99], v[98:99], v[64:65], -v[118:119]
	v_fma_f64 v[118:119], v[78:79], v[56:57], -v[122:123]
	v_fma_f64 v[100:101], v[100:101], v[64:65], v[120:121]
	v_fma_f64 v[120:121], v[80:81], v[56:57], v[124:125]
	v_fma_f64 v[86:87], v[86:87], v[68:69], -v[126:127]
	v_fma_f64 v[122:123], v[82:83], v[60:61], -v[128:129]
	v_fma_f64 v[124:125], v[84:85], v[60:61], v[130:131]
	v_fma_f64 v[88:89], v[88:89], v[68:69], v[132:133]
	v_add_f64 v[78:79], v[90:91], v[106:107]
	s_waitcnt vmcnt(0) lgkmcnt(0)
	v_mul_f64 v[80:81], v[96:97], v[74:75]
	v_mul_f64 v[82:83], v[94:95], v[74:75]
	v_add_f64 v[84:85], v[114:115], v[118:119]
	v_add_f64 v[128:129], v[92:93], v[108:109]
	;; [unrolled: 1-line block ×6, first 2 shown]
	v_fma_f64 v[94:95], v[94:95], v[72:73], -v[80:81]
	v_fma_f64 v[96:97], v[96:97], v[72:73], v[82:83]
	v_fma_f64 v[134:135], v[84:85], -0.5, v[90:91]
	v_add_f64 v[80:81], v[128:129], v[116:117]
	v_add_f64 v[84:85], v[132:133], v[100:101]
	v_fma_f64 v[126:127], v[126:127], -0.5, v[90:91]
	v_add_f64 v[82:83], v[130:131], v[98:99]
	v_add_f64 v[78:79], v[78:79], v[118:119]
	;; [unrolled: 1-line block ×11, first 2 shown]
	v_fma_f64 v[90:91], v[90:91], -0.5, v[104:105]
	v_add_f64 v[138:139], v[110:111], -v[94:95]
	v_fma_f64 v[130:131], v[130:131], -0.5, v[102:103]
	v_add_f64 v[142:143], v[80:81], v[88:89]
	v_add_f64 v[78:79], v[110:111], -v[98:99]
	v_add_f64 v[80:81], v[94:95], -v[122:123]
	;; [unrolled: 1-line block ×4, first 2 shown]
	v_add_f64 v[84:85], v[84:85], v[96:97]
	v_add_f64 v[165:166], v[108:109], -v[116:117]
	v_add_f64 v[167:168], v[88:89], -v[120:121]
	v_fma_f64 v[104:105], v[169:170], -0.5, v[104:105]
	v_fma_f64 v[102:103], v[171:172], -0.5, v[102:103]
	v_add_f64 v[132:133], v[108:109], v[88:89]
	v_add_f64 v[140:141], v[112:113], -v[96:97]
	v_add_f64 v[144:145], v[112:113], -v[100:101]
	;; [unrolled: 1-line block ×3, first 2 shown]
	v_fma_f64 v[148:149], v[138:139], s[18:19], v[90:91]
	v_add_f64 v[82:83], v[82:83], v[94:95]
	v_fma_f64 v[128:129], v[128:129], -0.5, v[92:93]
	v_add_f64 v[163:164], v[78:79], v[80:81]
	v_add_f64 v[80:81], v[142:143], v[84:85]
	v_add_f64 v[84:85], v[142:143], -v[84:85]
	v_add_f64 v[142:143], v[165:166], v[167:168]
	v_add_f64 v[165:166], v[108:109], -v[88:89]
	v_add_f64 v[167:168], v[106:107], -v[86:87]
	;; [unrolled: 1-line block ×6, first 2 shown]
	v_fma_f64 v[110:111], v[150:151], s[0:1], v[104:105]
	v_fma_f64 v[112:113], v[154:155], s[18:19], v[102:103]
	;; [unrolled: 1-line block ×3, first 2 shown]
	v_fma_f64 v[132:133], v[132:133], -0.5, v[92:93]
	v_add_f64 v[144:145], v[144:145], v[146:147]
	v_fma_f64 v[92:93], v[150:151], s[20:21], v[148:149]
	v_fma_f64 v[122:123], v[165:166], s[0:1], v[134:135]
	v_add_f64 v[124:125], v[116:117], -v[120:121]
	v_fma_f64 v[169:170], v[167:168], s[18:19], v[128:129]
	v_add_f64 v[171:172], v[114:115], -v[118:119]
	v_add_f64 v[98:99], v[98:99], v[94:95]
	v_add_f64 v[100:101], v[100:101], v[96:97]
	v_fma_f64 v[94:95], v[138:139], s[20:21], v[110:111]
	v_fma_f64 v[96:97], v[140:141], s[6:7], v[112:113]
	;; [unrolled: 1-line block ×3, first 2 shown]
	v_add_f64 v[148:149], v[106:107], -v[114:115]
	v_add_f64 v[152:153], v[86:87], -v[118:119]
	v_fma_f64 v[92:93], v[144:145], s[16:17], v[92:93]
	v_fma_f64 v[112:113], v[124:125], s[6:7], v[122:123]
	;; [unrolled: 1-line block ×5, first 2 shown]
	v_add_f64 v[106:107], v[114:115], -v[106:107]
	v_add_f64 v[86:87], v[118:119], -v[86:87]
	;; [unrolled: 1-line block ×4, first 2 shown]
	v_fma_f64 v[114:115], v[124:125], s[18:19], v[126:127]
	v_fma_f64 v[116:117], v[171:172], s[0:1], v[132:133]
	v_add_f64 v[78:79], v[136:137], v[82:83]
	v_fma_f64 v[146:147], v[163:164], s[16:17], v[146:147]
	v_add_f64 v[82:83], v[136:137], -v[82:83]
	v_add_f64 v[136:137], v[148:149], v[152:153]
	v_mul_f64 v[148:149], v[92:93], s[6:7]
	v_fma_f64 v[118:119], v[142:143], s[16:17], v[122:123]
	v_mul_f64 v[120:121], v[94:95], s[0:1]
	v_mul_f64 v[122:123], v[96:97], s[18:19]
	v_add_f64 v[106:107], v[106:107], v[86:87]
	v_add_f64 v[108:109], v[108:109], v[88:89]
	v_fma_f64 v[114:115], v[165:166], s[6:7], v[114:115]
	v_fma_f64 v[116:117], v[167:168], s[20:21], v[116:117]
	v_mul_f64 v[152:153], v[146:147], s[20:21]
	v_fma_f64 v[110:111], v[146:147], s[22:23], v[148:149]
	v_fma_f64 v[112:113], v[136:137], s[16:17], v[112:113]
	;; [unrolled: 1-line block ×11, first 2 shown]
	v_add_f64 v[86:87], v[112:113], v[110:111]
	v_add_f64 v[90:91], v[112:113], -v[110:111]
	v_fma_f64 v[110:111], v[140:141], s[20:21], v[94:95]
	v_fma_f64 v[112:113], v[138:139], s[6:7], v[96:97]
	v_add_f64 v[94:95], v[102:103], v[120:121]
	v_fma_f64 v[114:115], v[154:155], s[20:21], v[114:115]
	v_fma_f64 v[116:117], v[150:151], s[6:7], v[116:117]
	v_add_f64 v[88:89], v[118:119], v[92:93]
	v_add_f64 v[92:93], v[118:119], -v[92:93]
	v_fma_f64 v[118:119], v[124:125], s[0:1], v[126:127]
	v_fma_f64 v[126:127], v[171:172], s[18:19], v[132:133]
	;; [unrolled: 1-line block ×10, first 2 shown]
	v_mul_f64 v[128:129], v[98:99], s[16:17]
	v_mul_f64 v[130:131], v[100:101], s[16:17]
	v_fma_f64 v[110:111], v[124:125], s[20:21], v[110:111]
	v_fma_f64 v[112:113], v[171:172], s[6:7], v[112:113]
	v_mul_f64 v[124:125], v[114:115], s[22:23]
	v_mul_f64 v[132:133], v[116:117], s[22:23]
	v_fma_f64 v[106:107], v[106:107], s[16:17], v[118:119]
	v_fma_f64 v[108:109], v[108:109], s[16:17], v[126:127]
	v_fma_f64 v[118:119], v[100:101], s[0:1], -v[128:129]
	v_fma_f64 v[126:127], v[98:99], s[18:19], -v[130:131]
	v_fma_f64 v[128:129], v[136:137], s[16:17], v[110:111]
	v_fma_f64 v[130:131], v[142:143], s[16:17], v[112:113]
	v_fma_f64 v[116:117], v[116:117], s[6:7], -v[124:125]
	v_fma_f64 v[114:115], v[114:115], s[20:21], -v[132:133]
	v_add_f64 v[96:97], v[104:105], v[122:123]
	v_add_f64 v[98:99], v[102:103], -v[120:121]
	v_add_f64 v[100:101], v[104:105], -v[122:123]
	v_add_f64 v[102:103], v[106:107], v[118:119]
	v_add_f64 v[104:105], v[108:109], v[126:127]
	v_add_f64 v[106:107], v[106:107], -v[118:119]
	v_add_f64 v[110:111], v[128:129], v[116:117]
	v_add_f64 v[112:113], v[130:131], v[114:115]
	v_add_f64 v[108:109], v[108:109], -v[126:127]
	v_add_f64 v[116:117], v[128:129], -v[116:117]
	;; [unrolled: 1-line block ×3, first 2 shown]
	s_waitcnt lgkmcnt(0)
	; wave barrier
	ds_write_b128 v161, v[78:81]
	ds_write_b128 v161, v[86:89] offset:160
	ds_write_b128 v161, v[94:97] offset:320
	;; [unrolled: 1-line block ×9, first 2 shown]
	s_waitcnt lgkmcnt(0)
	; wave barrier
	s_waitcnt lgkmcnt(0)
	ds_read_b128 v[112:115], v158
	ds_read_b128 v[108:111], v158 offset:480
	ds_read_b128 v[128:131], v158 offset:3200
	ds_read_b128 v[124:127], v158 offset:3680
	ds_read_b128 v[144:147], v158 offset:1600
	ds_read_b128 v[120:123], v158 offset:960
	ds_read_b128 v[136:139], v158 offset:2080
	ds_read_b128 v[140:143], v158 offset:2560
	ds_read_b128 v[132:135], v158 offset:4160
	v_cmp_gt_u16_e64 s[0:1], 10, v157
                                        ; implicit-def: $vgpr148_vgpr149
                                        ; implicit-def: $vgpr152_vgpr153
	s_and_saveexec_b64 s[6:7], s[0:1]
	s_cbranch_execz .LBB0_3
; %bb.2:
	ds_read_b128 v[116:119], v158 offset:1440
	ds_read_b128 v[148:151], v158 offset:3040
	;; [unrolled: 1-line block ×3, first 2 shown]
.LBB0_3:
	s_or_b64 exec, exec, s[6:7]
	v_lshlrev_b32_e32 v76, 5, v157
	v_add_co_u32_e32 v78, vcc, 0x5a, v157
	global_load_dwordx4 v[84:87], v76, s[14:15] offset:1456
	global_load_dwordx4 v[88:91], v76, s[14:15] offset:1440
	v_add_u32_e32 v79, 0x3c0, v76
	v_add_u32_e32 v76, 0x780, v76
	v_addc_co_u32_e64 v77, s[6:7], 0, 0, vcc
	global_load_dwordx4 v[92:95], v79, s[14:15] offset:1456
	global_load_dwordx4 v[100:103], v79, s[14:15] offset:1440
	;; [unrolled: 1-line block ×4, first 2 shown]
	v_add_co_u32_e32 v76, vcc, -10, v157
	v_addc_co_u32_e64 v79, s[6:7], 0, -1, vcc
	v_cndmask_b32_e64 v77, v79, v77, s[0:1]
	v_cndmask_b32_e64 v76, v76, v78, s[0:1]
	v_lshlrev_b64 v[76:77], 5, v[76:77]
	v_mov_b32_e32 v78, s15
	v_add_co_u32_e32 v76, vcc, s14, v76
	v_addc_co_u32_e32 v77, vcc, v78, v77, vcc
	global_load_dwordx4 v[80:83], v[76:77], off offset:1440
	s_nop 0
	global_load_dwordx4 v[76:79], v[76:77], off offset:1456
	s_mov_b32 s6, 0xe8584caa
	s_mov_b32 s7, 0x3febb67a
	s_mov_b32 s15, 0xbfebb67a
	s_mov_b32 s14, s6
	v_lshl_add_u32 v162, v157, 4, v162
	s_waitcnt vmcnt(7) lgkmcnt(6)
	v_mul_f64 v[167:168], v[130:131], v[86:87]
	s_waitcnt vmcnt(6) lgkmcnt(4)
	v_mul_f64 v[163:164], v[146:147], v[90:91]
	v_mul_f64 v[165:166], v[144:145], v[90:91]
	;; [unrolled: 1-line block ×3, first 2 shown]
	s_waitcnt vmcnt(5)
	v_mul_f64 v[175:176], v[126:127], v[94:95]
	s_waitcnt vmcnt(4) lgkmcnt(2)
	v_mul_f64 v[171:172], v[138:139], v[102:103]
	v_mul_f64 v[173:174], v[136:137], v[102:103]
	;; [unrolled: 1-line block ×3, first 2 shown]
	s_waitcnt vmcnt(2) lgkmcnt(1)
	v_mul_f64 v[179:180], v[142:143], v[106:107]
	v_mul_f64 v[181:182], v[140:141], v[106:107]
	s_waitcnt lgkmcnt(0)
	v_mul_f64 v[183:184], v[134:135], v[98:99]
	v_mul_f64 v[185:186], v[132:133], v[98:99]
	v_fma_f64 v[144:145], v[144:145], v[88:89], -v[163:164]
	v_fma_f64 v[146:147], v[146:147], v[88:89], v[165:166]
	v_fma_f64 v[163:164], v[128:129], v[84:85], -v[167:168]
	v_fma_f64 v[165:166], v[130:131], v[84:85], v[169:170]
	;; [unrolled: 2-line block ×3, first 2 shown]
	s_waitcnt vmcnt(1)
	v_mul_f64 v[187:188], v[150:151], v[82:83]
	v_mul_f64 v[189:190], v[148:149], v[82:83]
	s_waitcnt vmcnt(0)
	v_mul_f64 v[191:192], v[154:155], v[78:79]
	v_mul_f64 v[193:194], v[152:153], v[78:79]
	v_fma_f64 v[167:168], v[124:125], v[92:93], -v[175:176]
	v_fma_f64 v[169:170], v[126:127], v[92:93], v[177:178]
	v_fma_f64 v[140:141], v[140:141], v[104:105], -v[179:180]
	v_fma_f64 v[142:143], v[142:143], v[104:105], v[181:182]
	;; [unrolled: 2-line block ×5, first 2 shown]
	v_add_f64 v[132:133], v[112:113], v[144:145]
	v_add_f64 v[134:135], v[144:145], v[163:164]
	v_add_f64 v[148:149], v[146:147], -v[165:166]
	v_add_f64 v[150:151], v[114:115], v[146:147]
	v_add_f64 v[146:147], v[146:147], v[165:166]
	v_add_f64 v[152:153], v[144:145], -v[163:164]
	v_add_f64 v[144:145], v[108:109], v[136:137]
	v_add_f64 v[154:155], v[136:137], v[167:168]
	;; [unrolled: 1-line block ×8, first 2 shown]
	v_add_f64 v[175:176], v[138:139], -v[169:170]
	v_add_f64 v[181:182], v[136:137], -v[167:168]
	;; [unrolled: 1-line block ×4, first 2 shown]
	v_add_f64 v[132:133], v[132:133], v[163:164]
	v_fma_f64 v[112:113], v[134:135], -0.5, v[112:113]
	v_add_f64 v[134:135], v[150:151], v[165:166]
	v_fma_f64 v[114:115], v[146:147], -0.5, v[114:115]
	;; [unrolled: 2-line block ×4, first 2 shown]
	v_fma_f64 v[167:168], v[195:196], -0.5, v[116:117]
	v_fma_f64 v[169:170], v[199:200], -0.5, v[118:119]
	v_add_f64 v[183:184], v[120:121], v[140:141]
	v_add_f64 v[189:190], v[122:123], v[142:143]
	v_add_f64 v[187:188], v[142:143], -v[173:174]
	v_add_f64 v[193:194], v[140:141], -v[171:172]
	v_fma_f64 v[154:155], v[185:186], -0.5, v[120:121]
	v_fma_f64 v[165:166], v[191:192], -0.5, v[122:123]
	v_fma_f64 v[120:121], v[148:149], s[6:7], v[112:113]
	v_fma_f64 v[144:145], v[148:149], s[14:15], v[112:113]
	;; [unrolled: 1-line block ×4, first 2 shown]
	ds_write_b128 v158, v[132:135]
	v_fma_f64 v[132:133], v[175:176], s[6:7], v[108:109]
	v_fma_f64 v[148:149], v[175:176], s[14:15], v[108:109]
	;; [unrolled: 1-line block ×8, first 2 shown]
	v_add_f64 v[140:141], v[183:184], v[171:172]
	v_add_f64 v[142:143], v[189:190], v[173:174]
	v_fma_f64 v[152:153], v[187:188], s[6:7], v[154:155]
	v_fma_f64 v[163:164], v[187:188], s[14:15], v[154:155]
	;; [unrolled: 1-line block ×4, first 2 shown]
	ds_write_b128 v162, v[120:123] offset:1600
	ds_write_b128 v162, v[144:147] offset:3200
	;; [unrolled: 1-line block ×8, first 2 shown]
	s_and_saveexec_b64 s[6:7], s[0:1]
	s_cbranch_execz .LBB0_5
; %bb.4:
	v_add_f64 v[118:119], v[118:119], v[130:131]
	v_add_f64 v[116:117], v[116:117], v[124:125]
	;; [unrolled: 1-line block ×4, first 2 shown]
	ds_write_b128 v158, v[116:119] offset:1440
	ds_write_b128 v162, v[108:111] offset:3040
	ds_write_b128 v162, v[112:115] offset:4640
.LBB0_5:
	s_or_b64 exec, exec, s[6:7]
	v_mov_b32_e32 v116, s13
	v_addc_co_u32_e64 v153, vcc, 0, v116, s[2:3]
	s_movk_i32 s2, 0x12c0
	v_add_co_u32_e32 v148, vcc, s2, v159
	v_addc_co_u32_e32 v149, vcc, 0, v153, vcc
	s_waitcnt lgkmcnt(0)
	; wave barrier
	s_waitcnt lgkmcnt(0)
	global_load_dwordx4 v[116:119], v[148:149], off offset:480
	s_movk_i32 s2, 0x1000
	global_load_dwordx4 v[120:123], v[148:149], off offset:960
	global_load_dwordx4 v[124:127], v[148:149], off offset:1440
	global_load_dwordx4 v[128:131], v[148:149], off offset:1920
	v_add_co_u32_e32 v136, vcc, s2, v159
	v_addc_co_u32_e32 v137, vcc, 0, v153, vcc
	s_movk_i32 s2, 0x2000
	v_add_co_u32_e32 v152, vcc, s2, v159
	global_load_dwordx4 v[132:135], v[148:149], off offset:2400
	s_nop 0
	global_load_dwordx4 v[136:139], v[136:137], off offset:704
	s_nop 0
	global_load_dwordx4 v[140:143], v[148:149], off offset:2880
	global_load_dwordx4 v[144:147], v[148:149], off offset:3360
	s_nop 0
	global_load_dwordx4 v[148:151], v[148:149], off offset:3840
	v_addc_co_u32_e32 v153, vcc, 0, v153, vcc
	global_load_dwordx4 v[152:155], v[152:153], off offset:928
	ds_read_b128 v[163:166], v158
	ds_read_b128 v[167:170], v158 offset:480
	ds_read_b128 v[171:174], v158 offset:960
	ds_read_b128 v[175:178], v158 offset:1440
	ds_read_b128 v[179:182], v158 offset:1920
	ds_read_b128 v[183:186], v158 offset:2400
	ds_read_b128 v[187:190], v158 offset:2880
	ds_read_b128 v[191:194], v158 offset:3360
	ds_read_b128 v[195:198], v158 offset:3840
	ds_read_b128 v[199:202], v158 offset:4320
	s_mov_b32 s6, 0x134454ff
	s_mov_b32 s7, 0xbfee6f0e
	;; [unrolled: 1-line block ×14, first 2 shown]
	s_waitcnt vmcnt(8) lgkmcnt(7)
	v_mul_f64 v[205:206], v[173:174], v[122:123]
	v_mul_f64 v[203:204], v[169:170], v[118:119]
	;; [unrolled: 1-line block ×4, first 2 shown]
	s_waitcnt vmcnt(7) lgkmcnt(6)
	v_mul_f64 v[207:208], v[177:178], v[126:127]
	v_mul_f64 v[126:127], v[175:176], v[126:127]
	s_waitcnt vmcnt(6) lgkmcnt(5)
	v_mul_f64 v[209:210], v[181:182], v[130:131]
	v_mul_f64 v[130:131], v[179:180], v[130:131]
	;; [unrolled: 3-line block ×6, first 2 shown]
	v_mul_f64 v[219:220], v[165:166], v[138:139]
	v_mul_f64 v[221:222], v[163:164], v[138:139]
	s_waitcnt vmcnt(0) lgkmcnt(0)
	v_mul_f64 v[223:224], v[201:202], v[154:155]
	v_mul_f64 v[154:155], v[199:200], v[154:155]
	v_fma_f64 v[167:168], v[167:168], v[116:117], -v[203:204]
	v_fma_f64 v[169:170], v[169:170], v[116:117], v[118:119]
	v_fma_f64 v[116:117], v[171:172], v[120:121], -v[205:206]
	v_fma_f64 v[118:119], v[173:174], v[120:121], v[122:123]
	;; [unrolled: 2-line block ×10, first 2 shown]
	ds_write_b128 v158, v[167:170] offset:480
	ds_write_b128 v158, v[116:119] offset:960
	;; [unrolled: 1-line block ×8, first 2 shown]
	ds_write_b128 v158, v[146:149]
	ds_write_b128 v158, v[150:153] offset:4320
	s_waitcnt lgkmcnt(0)
	; wave barrier
	s_waitcnt lgkmcnt(0)
	ds_read_b128 v[116:119], v158
	ds_read_b128 v[120:123], v158 offset:480
	ds_read_b128 v[124:127], v158 offset:1920
	;; [unrolled: 1-line block ×9, first 2 shown]
	s_waitcnt lgkmcnt(5)
	v_add_f64 v[165:166], v[124:125], v[132:133]
	v_add_f64 v[163:164], v[116:117], v[128:129]
	v_add_f64 v[171:172], v[126:127], -v[134:135]
	s_waitcnt lgkmcnt(1)
	v_add_f64 v[167:168], v[130:131], -v[150:151]
	v_add_f64 v[169:170], v[128:129], v[148:149]
	v_add_f64 v[173:174], v[128:129], -v[124:125]
	v_add_f64 v[175:176], v[148:149], -v[132:133]
	;; [unrolled: 1-line block ×3, first 2 shown]
	v_fma_f64 v[165:166], v[165:166], -0.5, v[116:117]
	v_add_f64 v[163:164], v[163:164], v[124:125]
	v_add_f64 v[181:182], v[132:133], -v[148:149]
	v_add_f64 v[183:184], v[118:119], v[130:131]
	v_fma_f64 v[116:117], v[169:170], -0.5, v[116:117]
	v_add_f64 v[169:170], v[126:127], v[134:135]
	v_add_f64 v[173:174], v[173:174], v[175:176]
	v_add_f64 v[128:129], v[128:129], -v[148:149]
	v_fma_f64 v[177:178], v[167:168], s[6:7], v[165:166]
	v_fma_f64 v[165:166], v[167:168], s[2:3], v[165:166]
	v_add_f64 v[163:164], v[163:164], v[132:133]
	v_add_f64 v[124:125], v[124:125], -v[132:133]
	v_add_f64 v[132:133], v[130:131], -v[126:127]
	v_fma_f64 v[169:170], v[169:170], -0.5, v[118:119]
	v_add_f64 v[185:186], v[142:143], v[146:147]
	v_add_f64 v[187:188], v[138:139], -v[142:143]
	v_fma_f64 v[175:176], v[171:172], s[12:13], v[177:178]
	v_fma_f64 v[165:166], v[171:172], s[14:15], v[165:166]
	;; [unrolled: 1-line block ×4, first 2 shown]
	v_add_f64 v[163:164], v[163:164], v[148:149]
	v_add_f64 v[171:172], v[183:184], v[126:127]
	v_add_f64 v[126:127], v[126:127], -v[130:131]
	s_waitcnt lgkmcnt(0)
	v_add_f64 v[183:184], v[136:137], v[152:153]
	v_fma_f64 v[148:149], v[173:174], s[16:17], v[175:176]
	v_fma_f64 v[165:166], v[173:174], s[16:17], v[165:166]
	;; [unrolled: 1-line block ×3, first 2 shown]
	v_add_f64 v[175:176], v[179:180], v[181:182]
	v_fma_f64 v[116:117], v[167:168], s[14:15], v[116:117]
	v_fma_f64 v[177:178], v[128:129], s[2:3], v[169:170]
	v_add_f64 v[179:180], v[150:151], -v[134:135]
	v_fma_f64 v[169:170], v[128:129], s[6:7], v[169:170]
	v_add_f64 v[181:182], v[130:131], v[150:151]
	v_add_f64 v[167:168], v[171:172], v[134:135]
	v_add_f64 v[130:131], v[134:135], -v[150:151]
	v_fma_f64 v[171:172], v[175:176], s[16:17], v[173:174]
	v_fma_f64 v[175:176], v[175:176], s[16:17], v[116:117]
	v_add_f64 v[116:117], v[120:121], v[136:137]
	v_add_f64 v[173:174], v[140:141], v[144:145]
	v_fma_f64 v[177:178], v[124:125], s[14:15], v[177:178]
	v_add_f64 v[132:133], v[132:133], v[179:180]
	v_fma_f64 v[169:170], v[124:125], s[12:13], v[169:170]
	v_fma_f64 v[118:119], v[181:182], -0.5, v[118:119]
	v_add_f64 v[167:168], v[167:168], v[150:151]
	v_add_f64 v[179:180], v[138:139], -v[154:155]
	v_add_f64 v[116:117], v[116:117], v[140:141]
	v_fma_f64 v[173:174], v[173:174], -0.5, v[120:121]
	v_add_f64 v[150:151], v[136:137], -v[140:141]
	v_fma_f64 v[177:178], v[132:133], s[16:17], v[177:178]
	v_fma_f64 v[169:170], v[132:133], s[16:17], v[169:170]
	;; [unrolled: 1-line block ×4, first 2 shown]
	v_add_f64 v[181:182], v[152:153], -v[144:145]
	v_add_f64 v[116:117], v[116:117], v[144:145]
	v_fma_f64 v[124:125], v[179:180], s[6:7], v[173:174]
	v_add_f64 v[134:135], v[142:143], -v[146:147]
	v_add_f64 v[126:127], v[126:127], v[130:131]
	v_fma_f64 v[130:131], v[179:180], s[2:3], v[173:174]
	v_fma_f64 v[132:133], v[128:129], s[14:15], v[132:133]
	;; [unrolled: 1-line block ×3, first 2 shown]
	v_add_f64 v[128:129], v[150:151], v[181:182]
	v_fma_f64 v[150:151], v[185:186], -0.5, v[122:123]
	v_add_f64 v[173:174], v[136:137], -v[152:153]
	v_add_f64 v[185:186], v[116:117], v[152:153]
	v_add_f64 v[116:117], v[138:139], v[154:155]
	v_fma_f64 v[120:121], v[183:184], -0.5, v[120:121]
	v_fma_f64 v[181:182], v[126:127], s[16:17], v[132:133]
	v_fma_f64 v[183:184], v[126:127], s[16:17], v[118:119]
	;; [unrolled: 1-line block ×3, first 2 shown]
	v_add_f64 v[132:133], v[140:141], -v[144:145]
	v_fma_f64 v[130:131], v[173:174], s[2:3], v[150:151]
	v_add_f64 v[189:190], v[154:155], -v[146:147]
	v_fma_f64 v[116:117], v[116:117], -0.5, v[122:123]
	v_add_f64 v[122:123], v[122:123], v[138:139]
	v_fma_f64 v[124:125], v[134:135], s[12:13], v[124:125]
	v_fma_f64 v[118:119], v[134:135], s[2:3], v[120:121]
	v_add_f64 v[136:137], v[140:141], -v[136:137]
	v_add_f64 v[140:141], v[144:145], -v[152:153]
	v_fma_f64 v[120:121], v[134:135], s[6:7], v[120:121]
	v_fma_f64 v[130:131], v[132:133], s[14:15], v[130:131]
	v_add_f64 v[134:135], v[187:188], v[189:190]
	v_fma_f64 v[144:145], v[132:133], s[6:7], v[116:117]
	v_add_f64 v[138:139], v[142:143], -v[138:139]
	v_add_f64 v[152:153], v[146:147], -v[154:155]
	v_fma_f64 v[116:117], v[132:133], s[2:3], v[116:117]
	v_add_f64 v[122:123], v[122:123], v[142:143]
	v_fma_f64 v[142:143], v[173:174], s[6:7], v[150:151]
	v_add_f64 v[136:137], v[136:137], v[140:141]
	v_fma_f64 v[120:121], v[179:180], s[14:15], v[120:121]
	v_fma_f64 v[130:131], v[134:135], s[16:17], v[130:131]
	;; [unrolled: 1-line block ×4, first 2 shown]
	v_add_f64 v[138:139], v[138:139], v[152:153]
	v_fma_f64 v[116:117], v[173:174], s[12:13], v[116:117]
	v_add_f64 v[122:123], v[122:123], v[146:147]
	v_fma_f64 v[132:133], v[132:133], s[12:13], v[142:143]
	v_fma_f64 v[124:125], v[128:129], s[16:17], v[124:125]
	;; [unrolled: 1-line block ×4, first 2 shown]
	v_mul_f64 v[120:121], v[130:131], s[12:13]
	v_fma_f64 v[118:119], v[136:137], s[16:17], v[118:119]
	v_fma_f64 v[136:137], v[138:139], s[16:17], v[140:141]
	;; [unrolled: 1-line block ×3, first 2 shown]
	v_add_f64 v[142:143], v[122:123], v[154:155]
	v_fma_f64 v[122:123], v[134:135], s[16:17], v[132:133]
	v_add_f64 v[116:117], v[163:164], v[185:186]
	v_fma_f64 v[140:141], v[124:125], s[20:21], v[120:121]
	v_mul_f64 v[124:125], v[124:125], s[14:15]
	v_mul_f64 v[120:121], v[136:137], s[6:7]
	;; [unrolled: 1-line block ×7, first 2 shown]
	; wave barrier
	v_fma_f64 v[154:155], v[130:131], s[20:21], v[124:125]
	v_fma_f64 v[144:145], v[118:119], s[16:17], v[120:121]
	;; [unrolled: 1-line block ×7, first 2 shown]
	v_add_f64 v[118:119], v[167:168], v[142:143]
	v_add_f64 v[120:121], v[148:149], v[140:141]
	;; [unrolled: 1-line block ×9, first 2 shown]
	v_add_f64 v[136:137], v[163:164], -v[185:186]
	v_add_f64 v[138:139], v[167:168], -v[142:143]
	;; [unrolled: 1-line block ×10, first 2 shown]
	ds_write_b128 v160, v[116:119]
	ds_write_b128 v160, v[120:123] offset:16
	ds_write_b128 v160, v[124:127] offset:32
	ds_write_b128 v160, v[128:131] offset:48
	ds_write_b128 v160, v[132:135] offset:64
	ds_write_b128 v160, v[136:139] offset:80
	ds_write_b128 v160, v[140:143] offset:96
	ds_write_b128 v160, v[144:147] offset:112
	ds_write_b128 v160, v[148:151] offset:128
	ds_write_b128 v160, v[152:155] offset:144
	s_waitcnt lgkmcnt(0)
	; wave barrier
	s_waitcnt lgkmcnt(0)
	ds_read_b128 v[116:119], v158 offset:480
	ds_read_b128 v[120:123], v158
	ds_read_b128 v[124:127], v158 offset:960
	ds_read_b128 v[128:131], v158 offset:1440
	;; [unrolled: 1-line block ×4, first 2 shown]
	s_waitcnt lgkmcnt(5)
	v_mul_f64 v[159:160], v[54:55], v[118:119]
	v_mul_f64 v[54:55], v[54:55], v[116:117]
	s_waitcnt lgkmcnt(3)
	v_mul_f64 v[163:164], v[50:51], v[126:127]
	ds_read_b128 v[140:143], v158 offset:2880
	ds_read_b128 v[144:147], v158 offset:3360
	v_mul_f64 v[50:51], v[50:51], v[124:125]
	ds_read_b128 v[148:151], v158 offset:3840
	ds_read_b128 v[152:155], v158 offset:4320
	s_waitcnt lgkmcnt(0)
	; wave barrier
	s_waitcnt lgkmcnt(0)
	v_fma_f64 v[116:117], v[52:53], v[116:117], v[159:160]
	v_mul_f64 v[159:160], v[42:43], v[134:135]
	v_fma_f64 v[52:53], v[52:53], v[118:119], -v[54:55]
	v_mul_f64 v[54:55], v[58:59], v[142:143]
	v_fma_f64 v[118:119], v[48:49], v[124:125], v[163:164]
	v_mul_f64 v[124:125], v[46:47], v[130:131]
	v_mul_f64 v[46:47], v[46:47], v[128:129]
	;; [unrolled: 1-line block ×3, first 2 shown]
	v_fma_f64 v[48:49], v[48:49], v[126:127], -v[50:51]
	v_fma_f64 v[50:51], v[40:41], v[132:133], v[159:160]
	v_mul_f64 v[126:127], v[66:67], v[138:139]
	v_fma_f64 v[54:55], v[56:57], v[140:141], v[54:55]
	v_mul_f64 v[132:133], v[70:71], v[148:149]
	v_fma_f64 v[124:125], v[44:45], v[128:129], v[124:125]
	v_fma_f64 v[44:45], v[44:45], v[130:131], -v[46:47]
	v_mul_f64 v[46:47], v[70:71], v[150:151]
	v_fma_f64 v[40:41], v[40:41], v[134:135], -v[42:43]
	v_mul_f64 v[42:43], v[66:67], v[136:137]
	v_fma_f64 v[66:67], v[64:65], v[136:137], v[126:127]
	v_add_f64 v[70:71], v[50:51], v[54:55]
	v_fma_f64 v[126:127], v[68:69], v[150:151], -v[132:133]
	v_mul_f64 v[58:59], v[58:59], v[140:141]
	v_mul_f64 v[128:129], v[62:63], v[146:147]
	v_fma_f64 v[46:47], v[68:69], v[148:149], v[46:47]
	v_mul_f64 v[62:63], v[62:63], v[144:145]
	v_fma_f64 v[42:43], v[64:65], v[138:139], -v[42:43]
	v_add_f64 v[64:65], v[120:121], v[118:119]
	v_fma_f64 v[68:69], v[70:71], -0.5, v[120:121]
	v_add_f64 v[70:71], v[48:49], -v[126:127]
	v_fma_f64 v[56:57], v[56:57], v[142:143], -v[58:59]
	v_fma_f64 v[58:59], v[60:61], v[144:145], v[128:129]
	v_add_f64 v[128:129], v[118:119], v[46:47]
	v_fma_f64 v[60:61], v[60:61], v[146:147], -v[62:63]
	v_mul_f64 v[62:63], v[74:75], v[154:155]
	v_mul_f64 v[74:75], v[74:75], v[152:153]
	v_add_f64 v[64:65], v[64:65], v[50:51]
	v_fma_f64 v[130:131], v[70:71], s[6:7], v[68:69]
	v_add_f64 v[132:133], v[40:41], -v[56:57]
	v_add_f64 v[134:135], v[118:119], -v[50:51]
	;; [unrolled: 1-line block ×3, first 2 shown]
	v_fma_f64 v[68:69], v[70:71], s[2:3], v[68:69]
	v_fma_f64 v[120:121], v[128:129], -0.5, v[120:121]
	v_fma_f64 v[62:63], v[72:73], v[152:153], v[62:63]
	v_fma_f64 v[72:73], v[72:73], v[154:155], -v[74:75]
	v_add_f64 v[74:75], v[40:41], v[56:57]
	v_add_f64 v[64:65], v[64:65], v[54:55]
	v_fma_f64 v[128:129], v[132:133], s[12:13], v[130:131]
	v_add_f64 v[130:131], v[134:135], v[136:137]
	v_fma_f64 v[68:69], v[132:133], s[14:15], v[68:69]
	v_fma_f64 v[134:135], v[132:133], s[2:3], v[120:121]
	v_add_f64 v[136:137], v[50:51], -v[118:119]
	v_add_f64 v[138:139], v[54:55], -v[46:47]
	v_add_f64 v[140:141], v[122:123], v[48:49]
	v_fma_f64 v[74:75], v[74:75], -0.5, v[122:123]
	v_add_f64 v[118:119], v[118:119], -v[46:47]
	v_add_f64 v[64:65], v[64:65], v[46:47]
	v_fma_f64 v[128:129], v[130:131], s[16:17], v[128:129]
	v_fma_f64 v[130:131], v[130:131], s[16:17], v[68:69]
	v_fma_f64 v[46:47], v[70:71], s[12:13], v[134:135]
	v_add_f64 v[68:69], v[136:137], v[138:139]
	v_fma_f64 v[120:121], v[132:133], s[6:7], v[120:121]
	v_add_f64 v[132:133], v[140:141], v[40:41]
	v_fma_f64 v[134:135], v[118:119], s[2:3], v[74:75]
	v_add_f64 v[50:51], v[50:51], -v[54:55]
	v_add_f64 v[54:55], v[48:49], -v[40:41]
	;; [unrolled: 1-line block ×3, first 2 shown]
	v_fma_f64 v[74:75], v[118:119], s[6:7], v[74:75]
	v_add_f64 v[138:139], v[48:49], v[126:127]
	v_fma_f64 v[70:71], v[70:71], s[14:15], v[120:121]
	v_add_f64 v[120:121], v[132:133], v[56:57]
	;; [unrolled: 2-line block ×4, first 2 shown]
	v_fma_f64 v[74:75], v[50:51], s[12:13], v[74:75]
	v_fma_f64 v[122:123], v[138:139], -0.5, v[122:123]
	v_fma_f64 v[70:71], v[68:69], s[16:17], v[70:71]
	v_add_f64 v[68:69], v[116:117], v[124:125]
	v_add_f64 v[136:137], v[44:45], -v[72:73]
	v_fma_f64 v[46:47], v[46:47], -0.5, v[116:117]
	v_add_f64 v[40:41], v[40:41], -v[48:49]
	v_fma_f64 v[134:135], v[54:55], s[16:17], v[134:135]
	v_fma_f64 v[138:139], v[54:55], s[16:17], v[74:75]
	;; [unrolled: 1-line block ×3, first 2 shown]
	v_add_f64 v[48:49], v[56:57], -v[126:127]
	v_add_f64 v[120:121], v[120:121], v[126:127]
	v_fma_f64 v[50:51], v[50:51], s[2:3], v[122:123]
	v_add_f64 v[56:57], v[68:69], v[66:67]
	v_fma_f64 v[68:69], v[136:137], s[6:7], v[46:47]
	v_add_f64 v[74:75], v[42:43], -v[60:61]
	v_add_f64 v[122:123], v[124:125], v[62:63]
	v_add_f64 v[126:127], v[124:125], -v[66:67]
	v_add_f64 v[140:141], v[62:63], -v[58:59]
	v_add_f64 v[142:143], v[42:43], v[60:61]
	v_fma_f64 v[54:55], v[118:119], s[14:15], v[54:55]
	v_add_f64 v[40:41], v[40:41], v[48:49]
	v_fma_f64 v[48:49], v[118:119], s[12:13], v[50:51]
	v_add_f64 v[50:51], v[56:57], v[58:59]
	v_fma_f64 v[56:57], v[122:123], -0.5, v[116:117]
	v_fma_f64 v[68:69], v[74:75], s[12:13], v[68:69]
	v_add_f64 v[116:117], v[126:127], v[140:141]
	v_fma_f64 v[118:119], v[142:143], -0.5, v[52:53]
	v_add_f64 v[122:123], v[124:125], -v[62:63]
	v_fma_f64 v[126:127], v[40:41], s[16:17], v[54:55]
	v_add_f64 v[54:55], v[44:45], v[72:73]
	v_fma_f64 v[142:143], v[40:41], s[16:17], v[48:49]
	v_add_f64 v[40:41], v[50:51], v[62:63]
	v_add_f64 v[144:145], v[72:73], -v[60:61]
	v_fma_f64 v[50:51], v[116:117], s[16:17], v[68:69]
	v_add_f64 v[68:69], v[66:67], -v[58:59]
	v_fma_f64 v[48:49], v[122:123], s[2:3], v[118:119]
	v_add_f64 v[66:67], v[66:67], -v[124:125]
	v_add_f64 v[124:125], v[44:45], -v[42:43]
	v_fma_f64 v[54:55], v[54:55], -0.5, v[52:53]
	v_add_f64 v[52:53], v[52:53], v[44:45]
	v_fma_f64 v[118:119], v[122:123], s[6:7], v[118:119]
	v_add_f64 v[44:45], v[42:43], -v[44:45]
	v_add_f64 v[148:149], v[60:61], -v[72:73]
	v_fma_f64 v[48:49], v[68:69], s[14:15], v[48:49]
	v_add_f64 v[58:59], v[58:59], -v[62:63]
	v_add_f64 v[124:125], v[124:125], v[144:145]
	v_fma_f64 v[146:147], v[68:69], s[6:7], v[54:55]
	v_fma_f64 v[54:55], v[68:69], s[2:3], v[54:55]
	v_add_f64 v[42:43], v[52:53], v[42:43]
	v_fma_f64 v[62:63], v[68:69], s[12:13], v[118:119]
	v_fma_f64 v[140:141], v[74:75], s[2:3], v[56:57]
	;; [unrolled: 1-line block ×3, first 2 shown]
	v_add_f64 v[44:45], v[44:45], v[148:149]
	v_fma_f64 v[48:49], v[124:125], s[16:17], v[48:49]
	v_fma_f64 v[52:53], v[122:123], s[14:15], v[146:147]
	;; [unrolled: 1-line block ×4, first 2 shown]
	v_add_f64 v[42:43], v[42:43], v[60:61]
	v_fma_f64 v[60:61], v[124:125], s[16:17], v[62:63]
	v_fma_f64 v[140:141], v[136:137], s[12:13], v[140:141]
	v_add_f64 v[58:59], v[66:67], v[58:59]
	v_mul_f64 v[62:63], v[48:49], s[12:13]
	v_fma_f64 v[56:57], v[136:137], s[14:15], v[56:57]
	v_fma_f64 v[52:53], v[44:45], s[16:17], v[52:53]
	;; [unrolled: 1-line block ×4, first 2 shown]
	v_add_f64 v[42:43], v[42:43], v[72:73]
	v_mul_f64 v[72:73], v[60:61], s[12:13]
	v_fma_f64 v[66:67], v[58:59], s[16:17], v[140:141]
	v_fma_f64 v[74:75], v[50:51], s[20:21], v[62:63]
	v_mul_f64 v[62:63], v[48:49], s[20:21]
	v_fma_f64 v[56:57], v[58:59], s[16:17], v[56:57]
	v_mul_f64 v[58:59], v[52:53], s[6:7]
	v_mul_f64 v[52:53], v[52:53], s[16:17]
	;; [unrolled: 1-line block ×4, first 2 shown]
	v_fma_f64 v[46:47], v[116:117], s[16:17], v[46:47]
	v_mul_f64 v[60:61], v[60:61], s[22:23]
	v_fma_f64 v[124:125], v[50:51], s[14:15], v[62:63]
	v_add_f64 v[44:45], v[64:65], v[40:41]
	v_fma_f64 v[116:117], v[66:67], s[16:17], v[58:59]
	v_fma_f64 v[136:137], v[66:67], s[2:3], v[52:53]
	;; [unrolled: 1-line block ×6, first 2 shown]
	v_add_f64 v[46:47], v[120:121], v[42:43]
	v_add_f64 v[48:49], v[128:129], v[74:75]
	;; [unrolled: 1-line block ×9, first 2 shown]
	v_add_f64 v[64:65], v[64:65], -v[40:41]
	v_add_f64 v[66:67], v[120:121], -v[42:43]
	;; [unrolled: 1-line block ×10, first 2 shown]
	ds_write_b128 v161, v[44:47]
	ds_write_b128 v161, v[48:51] offset:160
	ds_write_b128 v161, v[52:55] offset:320
	;; [unrolled: 1-line block ×9, first 2 shown]
	s_waitcnt lgkmcnt(0)
	; wave barrier
	s_waitcnt lgkmcnt(0)
	ds_read_b128 v[52:55], v158
	ds_read_b128 v[48:51], v158 offset:480
	ds_read_b128 v[72:75], v158 offset:3200
	;; [unrolled: 1-line block ×8, first 2 shown]
	v_add_u32_e32 v120, 0x3c0, v158
	s_and_saveexec_b64 s[2:3], s[0:1]
	s_cbranch_execz .LBB0_7
; %bb.6:
	ds_read_b128 v[40:43], v158 offset:1440
	ds_read_b128 v[108:111], v158 offset:3040
	;; [unrolled: 1-line block ×3, first 2 shown]
.LBB0_7:
	s_or_b64 exec, exec, s[2:3]
	s_waitcnt lgkmcnt(4)
	v_mul_f64 v[121:122], v[90:91], v[118:119]
	v_mul_f64 v[123:124], v[86:87], v[74:75]
	;; [unrolled: 1-line block ×4, first 2 shown]
	s_waitcnt lgkmcnt(2)
	v_mul_f64 v[125:126], v[102:103], v[70:71]
	v_mul_f64 v[127:128], v[94:95], v[62:63]
	;; [unrolled: 1-line block ×4, first 2 shown]
	v_fma_f64 v[116:117], v[88:89], v[116:117], v[121:122]
	v_fma_f64 v[72:73], v[84:85], v[72:73], v[123:124]
	v_fma_f64 v[88:89], v[88:89], v[118:119], -v[90:91]
	v_fma_f64 v[74:75], v[84:85], v[74:75], -v[86:87]
	s_waitcnt lgkmcnt(1)
	v_mul_f64 v[121:122], v[106:107], v[66:67]
	s_waitcnt lgkmcnt(0)
	v_mul_f64 v[123:124], v[98:99], v[58:59]
	v_mul_f64 v[98:99], v[98:99], v[56:57]
	v_fma_f64 v[86:87], v[100:101], v[68:69], v[125:126]
	v_fma_f64 v[90:91], v[92:93], v[60:61], v[127:128]
	v_add_f64 v[84:85], v[116:117], v[72:73]
	v_mul_f64 v[106:107], v[106:107], v[64:65]
	v_add_f64 v[60:61], v[52:53], v[116:117]
	v_add_f64 v[68:69], v[88:89], v[74:75]
	v_fma_f64 v[70:71], v[100:101], v[70:71], -v[102:103]
	v_fma_f64 v[92:93], v[92:93], v[62:63], -v[94:95]
	v_fma_f64 v[94:95], v[104:105], v[64:65], v[121:122]
	v_add_f64 v[64:65], v[88:89], -v[74:75]
	v_add_f64 v[88:89], v[54:55], v[88:89]
	v_fma_f64 v[62:63], v[84:85], -0.5, v[52:53]
	v_fma_f64 v[84:85], v[96:97], v[56:57], v[123:124]
	v_fma_f64 v[96:97], v[96:97], v[58:59], -v[98:99]
	v_add_f64 v[58:59], v[86:87], v[90:91]
	v_fma_f64 v[66:67], v[104:105], v[66:67], -v[106:107]
	v_add_f64 v[52:53], v[60:61], v[72:73]
	v_fma_f64 v[68:69], v[68:69], -0.5, v[54:55]
	v_add_f64 v[72:73], v[116:117], -v[72:73]
	v_add_f64 v[54:55], v[88:89], v[74:75]
	v_add_f64 v[74:75], v[70:71], v[92:93]
	s_mov_b32 s2, 0xe8584caa
	s_mov_b32 s3, 0xbfebb67a
	;; [unrolled: 1-line block ×4, first 2 shown]
	v_add_f64 v[98:99], v[48:49], v[86:87]
	v_fma_f64 v[100:101], v[58:59], -0.5, v[48:49]
	v_add_f64 v[102:103], v[70:71], -v[92:93]
	v_fma_f64 v[56:57], v[64:65], s[2:3], v[62:63]
	v_fma_f64 v[60:61], v[64:65], s[6:7], v[62:63]
	;; [unrolled: 1-line block ×4, first 2 shown]
	v_add_f64 v[72:73], v[94:95], v[84:85]
	v_add_f64 v[88:89], v[66:67], v[96:97]
	;; [unrolled: 1-line block ×3, first 2 shown]
	v_fma_f64 v[74:75], v[74:75], -0.5, v[50:51]
	v_add_f64 v[86:87], v[86:87], -v[90:91]
	v_add_f64 v[48:49], v[98:99], v[90:91]
	v_fma_f64 v[64:65], v[102:103], s[2:3], v[100:101]
	v_fma_f64 v[68:69], v[102:103], s[6:7], v[100:101]
	v_add_f64 v[90:91], v[44:45], v[94:95]
	v_add_f64 v[102:103], v[46:47], v[66:67]
	v_fma_f64 v[98:99], v[72:73], -0.5, v[44:45]
	v_add_f64 v[100:101], v[66:67], -v[96:97]
	v_fma_f64 v[88:89], v[88:89], -0.5, v[46:47]
	v_add_f64 v[94:95], v[94:95], -v[84:85]
	v_add_f64 v[50:51], v[70:71], v[92:93]
	v_fma_f64 v[66:67], v[86:87], s[6:7], v[74:75]
	v_fma_f64 v[70:71], v[86:87], s[2:3], v[74:75]
	v_add_f64 v[44:45], v[90:91], v[84:85]
	v_add_f64 v[46:47], v[102:103], v[96:97]
	v_fma_f64 v[72:73], v[100:101], s[2:3], v[98:99]
	v_fma_f64 v[84:85], v[100:101], s[6:7], v[98:99]
	;; [unrolled: 1-line block ×4, first 2 shown]
	ds_write_b128 v158, v[52:55]
	ds_write_b128 v162, v[56:59] offset:1600
	ds_write_b128 v162, v[60:63] offset:3200
	;; [unrolled: 1-line block ×8, first 2 shown]
	s_and_saveexec_b64 s[12:13], s[0:1]
	s_cbranch_execz .LBB0_9
; %bb.8:
	v_mul_f64 v[44:45], v[82:83], v[108:109]
	v_mul_f64 v[46:47], v[78:79], v[112:113]
	;; [unrolled: 1-line block ×4, first 2 shown]
	v_fma_f64 v[44:45], v[80:81], v[110:111], -v[44:45]
	v_fma_f64 v[46:47], v[76:77], v[114:115], -v[46:47]
	v_fma_f64 v[48:49], v[80:81], v[108:109], v[48:49]
	v_fma_f64 v[50:51], v[76:77], v[112:113], v[50:51]
	v_add_f64 v[58:59], v[42:43], v[44:45]
	v_add_f64 v[52:53], v[44:45], v[46:47]
	v_add_f64 v[44:45], v[44:45], -v[46:47]
	v_add_f64 v[54:55], v[48:49], v[50:51]
	v_add_f64 v[56:57], v[48:49], -v[50:51]
	v_add_f64 v[48:49], v[40:41], v[48:49]
	v_fma_f64 v[52:53], v[52:53], -0.5, v[42:43]
	v_add_f64 v[42:43], v[58:59], v[46:47]
	v_fma_f64 v[54:55], v[54:55], -0.5, v[40:41]
	v_add_f64 v[40:41], v[48:49], v[50:51]
	v_fma_f64 v[50:51], v[56:57], s[6:7], v[52:53]
	v_fma_f64 v[46:47], v[56:57], s[2:3], v[52:53]
	;; [unrolled: 1-line block ×4, first 2 shown]
	ds_write_b128 v158, v[40:43] offset:1440
	ds_write_b128 v162, v[48:51] offset:3040
	;; [unrolled: 1-line block ×3, first 2 shown]
.LBB0_9:
	s_or_b64 exec, exec, s[12:13]
	s_waitcnt lgkmcnt(0)
	; wave barrier
	s_waitcnt lgkmcnt(0)
	ds_read_b128 v[40:43], v158
	ds_read_b128 v[44:47], v158 offset:480
	v_mad_u64_u32 v[50:51], s[0:1], s10, v156, 0
	v_mad_u64_u32 v[52:53], s[2:3], s8, v157, 0
	s_waitcnt lgkmcnt(1)
	v_mul_f64 v[48:49], v[38:39], v[42:43]
	v_mul_f64 v[38:39], v[38:39], v[40:41]
	s_mov_b32 s0, 0xb4e81b4f
	s_mov_b32 s1, 0x3f6b4e81
	v_fma_f64 v[40:41], v[36:37], v[40:41], v[48:49]
	v_fma_f64 v[38:39], v[36:37], v[42:43], -v[38:39]
	v_mad_u64_u32 v[36:37], s[2:3], s11, v156, v[51:52]
	v_mov_b32_e32 v37, v53
	v_mov_b32_e32 v48, s5
	;; [unrolled: 1-line block ×3, first 2 shown]
	v_mad_u64_u32 v[42:43], s[2:3], s9, v157, v[37:38]
	v_mul_f64 v[36:37], v[40:41], s[0:1]
	v_mul_f64 v[38:39], v[38:39], s[0:1]
	v_mov_b32_e32 v53, v42
	s_waitcnt lgkmcnt(0)
	v_mul_f64 v[42:43], v[22:23], v[46:47]
	v_mul_f64 v[22:23], v[22:23], v[44:45]
	v_lshlrev_b64 v[40:41], 4, v[50:51]
	s_mul_i32 s2, s9, 0x1e0
	v_add_co_u32_e32 v49, vcc, s4, v40
	v_addc_co_u32_e32 v48, vcc, v48, v41, vcc
	v_fma_f64 v[42:43], v[20:21], v[44:45], v[42:43]
	v_fma_f64 v[44:45], v[20:21], v[46:47], -v[22:23]
	ds_read_b128 v[20:23], v158 offset:960
	v_lshlrev_b64 v[40:41], 4, v[52:53]
	s_mul_hi_u32 s3, s8, 0x1e0
	v_add_co_u32_e32 v46, vcc, v49, v40
	v_addc_co_u32_e32 v47, vcc, v48, v41, vcc
	global_store_dwordx4 v[46:47], v[36:39], off
	s_add_i32 s2, s3, s2
	v_mul_f64 v[36:37], v[42:43], s[0:1]
	ds_read_b128 v[40:43], v158 offset:1440
	s_waitcnt lgkmcnt(1)
	v_mul_f64 v[48:49], v[34:35], v[22:23]
	v_mul_f64 v[34:35], v[34:35], v[20:21]
	;; [unrolled: 1-line block ×3, first 2 shown]
	s_mul_i32 s3, s8, 0x1e0
	s_waitcnt lgkmcnt(0)
	v_mul_f64 v[44:45], v[10:11], v[42:43]
	v_mul_f64 v[10:11], v[10:11], v[40:41]
	v_mov_b32_e32 v50, s2
	v_add_co_u32_e32 v46, vcc, s3, v46
	v_fma_f64 v[20:21], v[32:33], v[20:21], v[48:49]
	v_fma_f64 v[22:23], v[32:33], v[22:23], -v[34:35]
	ds_read_b128 v[32:35], v158 offset:1920
	v_addc_co_u32_e32 v47, vcc, v47, v50, vcc
	global_store_dwordx4 v[46:47], v[36:39], off
	v_mov_b32_e32 v48, s2
	v_fma_f64 v[36:37], v[8:9], v[40:41], v[44:45]
	v_mul_f64 v[20:21], v[20:21], s[0:1]
	v_mul_f64 v[22:23], v[22:23], s[0:1]
	v_fma_f64 v[38:39], v[8:9], v[42:43], -v[10:11]
	ds_read_b128 v[8:11], v158 offset:2400
	s_waitcnt lgkmcnt(1)
	v_mul_f64 v[40:41], v[30:31], v[34:35]
	v_mul_f64 v[30:31], v[30:31], v[32:33]
	v_add_co_u32_e32 v42, vcc, s3, v46
	v_addc_co_u32_e32 v43, vcc, v47, v48, vcc
	global_store_dwordx4 v[42:43], v[20:23], off
	v_fma_f64 v[32:33], v[28:29], v[32:33], v[40:41]
	v_mul_f64 v[20:21], v[36:37], s[0:1]
	v_mul_f64 v[22:23], v[38:39], s[0:1]
	v_fma_f64 v[28:29], v[28:29], v[34:35], -v[30:31]
	s_waitcnt lgkmcnt(0)
	v_mul_f64 v[34:35], v[6:7], v[10:11]
	v_mul_f64 v[6:7], v[6:7], v[8:9]
	v_mov_b32_e32 v37, s2
	v_add_co_u32_e32 v36, vcc, s3, v42
	v_addc_co_u32_e32 v37, vcc, v43, v37, vcc
	global_store_dwordx4 v[36:37], v[20:23], off
	v_fma_f64 v[8:9], v[4:5], v[8:9], v[34:35]
	v_mul_f64 v[22:23], v[28:29], s[0:1]
	ds_read_b128 v[28:31], v158 offset:2880
	v_fma_f64 v[10:11], v[4:5], v[10:11], -v[6:7]
	ds_read_b128 v[4:7], v158 offset:3360
	v_mul_f64 v[20:21], v[32:33], s[0:1]
	v_mov_b32_e32 v38, s2
	s_waitcnt lgkmcnt(1)
	v_mul_f64 v[32:33], v[26:27], v[30:31]
	v_mul_f64 v[26:27], v[26:27], v[28:29]
	v_add_co_u32_e32 v34, vcc, s3, v36
	v_addc_co_u32_e32 v35, vcc, v37, v38, vcc
	v_mul_f64 v[8:9], v[8:9], s[0:1]
	v_mul_f64 v[10:11], v[10:11], s[0:1]
	global_store_dwordx4 v[34:35], v[20:23], off
	v_mov_b32_e32 v36, s2
	v_fma_f64 v[20:21], v[24:25], v[28:29], v[32:33]
	v_fma_f64 v[22:23], v[24:25], v[30:31], -v[26:27]
	s_waitcnt lgkmcnt(0)
	v_mul_f64 v[24:25], v[14:15], v[6:7]
	v_mul_f64 v[14:15], v[14:15], v[4:5]
	v_add_co_u32_e32 v26, vcc, s3, v34
	v_addc_co_u32_e32 v27, vcc, v35, v36, vcc
	global_store_dwordx4 v[26:27], v[8:11], off
	v_mov_b32_e32 v28, s2
	v_mul_f64 v[8:9], v[20:21], s[0:1]
	v_mul_f64 v[10:11], v[22:23], s[0:1]
	v_fma_f64 v[20:21], v[12:13], v[4:5], v[24:25]
	v_fma_f64 v[22:23], v[12:13], v[6:7], -v[14:15]
	ds_read_b128 v[4:7], v158 offset:3840
	ds_read_b128 v[12:15], v158 offset:4320
	v_add_co_u32_e32 v24, vcc, s3, v26
	v_addc_co_u32_e32 v25, vcc, v27, v28, vcc
	s_waitcnt lgkmcnt(1)
	v_mul_f64 v[26:27], v[2:3], v[6:7]
	v_mul_f64 v[2:3], v[2:3], v[4:5]
	s_waitcnt lgkmcnt(0)
	v_mul_f64 v[28:29], v[18:19], v[14:15]
	v_mul_f64 v[18:19], v[18:19], v[12:13]
	global_store_dwordx4 v[24:25], v[8:11], off
	v_fma_f64 v[4:5], v[0:1], v[4:5], v[26:27]
	v_fma_f64 v[2:3], v[0:1], v[6:7], -v[2:3]
	v_fma_f64 v[6:7], v[16:17], v[12:13], v[28:29]
	v_fma_f64 v[12:13], v[16:17], v[14:15], -v[18:19]
	v_mul_f64 v[8:9], v[20:21], s[0:1]
	v_mul_f64 v[10:11], v[22:23], s[0:1]
	v_mov_b32_e32 v20, s2
	v_add_co_u32_e32 v14, vcc, s3, v24
	v_mul_f64 v[0:1], v[4:5], s[0:1]
	v_mul_f64 v[2:3], v[2:3], s[0:1]
	;; [unrolled: 1-line block ×4, first 2 shown]
	v_addc_co_u32_e32 v15, vcc, v25, v20, vcc
	global_store_dwordx4 v[14:15], v[8:11], off
	s_nop 0
	v_mov_b32_e32 v9, s2
	v_add_co_u32_e32 v8, vcc, s3, v14
	v_addc_co_u32_e32 v9, vcc, v15, v9, vcc
	global_store_dwordx4 v[8:9], v[0:3], off
	s_nop 0
	v_mov_b32_e32 v1, s2
	v_add_co_u32_e32 v0, vcc, s3, v8
	v_addc_co_u32_e32 v1, vcc, v9, v1, vcc
	global_store_dwordx4 v[0:1], v[4:7], off
.LBB0_10:
	s_endpgm
	.section	.rodata,"a",@progbits
	.p2align	6, 0x0
	.amdhsa_kernel bluestein_single_fwd_len300_dim1_dp_op_CI_CI
		.amdhsa_group_segment_fixed_size 9600
		.amdhsa_private_segment_fixed_size 0
		.amdhsa_kernarg_size 104
		.amdhsa_user_sgpr_count 6
		.amdhsa_user_sgpr_private_segment_buffer 1
		.amdhsa_user_sgpr_dispatch_ptr 0
		.amdhsa_user_sgpr_queue_ptr 0
		.amdhsa_user_sgpr_kernarg_segment_ptr 1
		.amdhsa_user_sgpr_dispatch_id 0
		.amdhsa_user_sgpr_flat_scratch_init 0
		.amdhsa_user_sgpr_private_segment_size 0
		.amdhsa_uses_dynamic_stack 0
		.amdhsa_system_sgpr_private_segment_wavefront_offset 0
		.amdhsa_system_sgpr_workgroup_id_x 1
		.amdhsa_system_sgpr_workgroup_id_y 0
		.amdhsa_system_sgpr_workgroup_id_z 0
		.amdhsa_system_sgpr_workgroup_info 0
		.amdhsa_system_vgpr_workitem_id 0
		.amdhsa_next_free_vgpr 225
		.amdhsa_next_free_sgpr 26
		.amdhsa_reserve_vcc 1
		.amdhsa_reserve_flat_scratch 0
		.amdhsa_float_round_mode_32 0
		.amdhsa_float_round_mode_16_64 0
		.amdhsa_float_denorm_mode_32 3
		.amdhsa_float_denorm_mode_16_64 3
		.amdhsa_dx10_clamp 1
		.amdhsa_ieee_mode 1
		.amdhsa_fp16_overflow 0
		.amdhsa_exception_fp_ieee_invalid_op 0
		.amdhsa_exception_fp_denorm_src 0
		.amdhsa_exception_fp_ieee_div_zero 0
		.amdhsa_exception_fp_ieee_overflow 0
		.amdhsa_exception_fp_ieee_underflow 0
		.amdhsa_exception_fp_ieee_inexact 0
		.amdhsa_exception_int_div_zero 0
	.end_amdhsa_kernel
	.text
.Lfunc_end0:
	.size	bluestein_single_fwd_len300_dim1_dp_op_CI_CI, .Lfunc_end0-bluestein_single_fwd_len300_dim1_dp_op_CI_CI
                                        ; -- End function
	.section	.AMDGPU.csdata,"",@progbits
; Kernel info:
; codeLenInByte = 11104
; NumSgprs: 30
; NumVgprs: 225
; ScratchSize: 0
; MemoryBound: 0
; FloatMode: 240
; IeeeMode: 1
; LDSByteSize: 9600 bytes/workgroup (compile time only)
; SGPRBlocks: 3
; VGPRBlocks: 56
; NumSGPRsForWavesPerEU: 30
; NumVGPRsForWavesPerEU: 225
; Occupancy: 1
; WaveLimiterHint : 1
; COMPUTE_PGM_RSRC2:SCRATCH_EN: 0
; COMPUTE_PGM_RSRC2:USER_SGPR: 6
; COMPUTE_PGM_RSRC2:TRAP_HANDLER: 0
; COMPUTE_PGM_RSRC2:TGID_X_EN: 1
; COMPUTE_PGM_RSRC2:TGID_Y_EN: 0
; COMPUTE_PGM_RSRC2:TGID_Z_EN: 0
; COMPUTE_PGM_RSRC2:TIDIG_COMP_CNT: 0
	.type	__hip_cuid_d55826eeffd5a2a2,@object ; @__hip_cuid_d55826eeffd5a2a2
	.section	.bss,"aw",@nobits
	.globl	__hip_cuid_d55826eeffd5a2a2
__hip_cuid_d55826eeffd5a2a2:
	.byte	0                               ; 0x0
	.size	__hip_cuid_d55826eeffd5a2a2, 1

	.ident	"AMD clang version 19.0.0git (https://github.com/RadeonOpenCompute/llvm-project roc-6.4.0 25133 c7fe45cf4b819c5991fe208aaa96edf142730f1d)"
	.section	".note.GNU-stack","",@progbits
	.addrsig
	.addrsig_sym __hip_cuid_d55826eeffd5a2a2
	.amdgpu_metadata
---
amdhsa.kernels:
  - .args:
      - .actual_access:  read_only
        .address_space:  global
        .offset:         0
        .size:           8
        .value_kind:     global_buffer
      - .actual_access:  read_only
        .address_space:  global
        .offset:         8
        .size:           8
        .value_kind:     global_buffer
      - .actual_access:  read_only
        .address_space:  global
        .offset:         16
        .size:           8
        .value_kind:     global_buffer
      - .actual_access:  read_only
        .address_space:  global
        .offset:         24
        .size:           8
        .value_kind:     global_buffer
      - .actual_access:  read_only
        .address_space:  global
        .offset:         32
        .size:           8
        .value_kind:     global_buffer
      - .offset:         40
        .size:           8
        .value_kind:     by_value
      - .address_space:  global
        .offset:         48
        .size:           8
        .value_kind:     global_buffer
      - .address_space:  global
        .offset:         56
        .size:           8
        .value_kind:     global_buffer
      - .address_space:  global
        .offset:         64
        .size:           8
        .value_kind:     global_buffer
      - .address_space:  global
        .offset:         72
        .size:           8
        .value_kind:     global_buffer
      - .offset:         80
        .size:           4
        .value_kind:     by_value
      - .address_space:  global
        .offset:         88
        .size:           8
        .value_kind:     global_buffer
      - .address_space:  global
        .offset:         96
        .size:           8
        .value_kind:     global_buffer
    .group_segment_fixed_size: 9600
    .kernarg_segment_align: 8
    .kernarg_segment_size: 104
    .language:       OpenCL C
    .language_version:
      - 2
      - 0
    .max_flat_workgroup_size: 60
    .name:           bluestein_single_fwd_len300_dim1_dp_op_CI_CI
    .private_segment_fixed_size: 0
    .sgpr_count:     30
    .sgpr_spill_count: 0
    .symbol:         bluestein_single_fwd_len300_dim1_dp_op_CI_CI.kd
    .uniform_work_group_size: 1
    .uses_dynamic_stack: false
    .vgpr_count:     225
    .vgpr_spill_count: 0
    .wavefront_size: 64
amdhsa.target:   amdgcn-amd-amdhsa--gfx906
amdhsa.version:
  - 1
  - 2
...

	.end_amdgpu_metadata
